;; amdgpu-corpus repo=ROCm/rocFFT kind=compiled arch=gfx1100 opt=O3
	.text
	.amdgcn_target "amdgcn-amd-amdhsa--gfx1100"
	.amdhsa_code_object_version 6
	.protected	fft_rtc_fwd_len650_factors_10_5_13_wgs_195_tpt_65_dp_ip_CI_unitstride_sbrr_dirReg ; -- Begin function fft_rtc_fwd_len650_factors_10_5_13_wgs_195_tpt_65_dp_ip_CI_unitstride_sbrr_dirReg
	.globl	fft_rtc_fwd_len650_factors_10_5_13_wgs_195_tpt_65_dp_ip_CI_unitstride_sbrr_dirReg
	.p2align	8
	.type	fft_rtc_fwd_len650_factors_10_5_13_wgs_195_tpt_65_dp_ip_CI_unitstride_sbrr_dirReg,@function
fft_rtc_fwd_len650_factors_10_5_13_wgs_195_tpt_65_dp_ip_CI_unitstride_sbrr_dirReg: ; @fft_rtc_fwd_len650_factors_10_5_13_wgs_195_tpt_65_dp_ip_CI_unitstride_sbrr_dirReg
; %bb.0:
	s_load_b128 s[4:7], s[0:1], 0x0
	v_mul_u32_u24_e32 v1, 0x3f1, v0
	s_clause 0x1
	s_load_b64 s[8:9], s[0:1], 0x50
	s_load_b64 s[10:11], s[0:1], 0x18
	s_delay_alu instid0(VALU_DEP_1) | instskip(SKIP_1) | instid1(VALU_DEP_2)
	v_lshrrev_b32_e32 v2, 16, v1
	v_mov_b32_e32 v1, 0
	v_mad_u64_u32 v[40:41], null, s15, 3, v[2:3]
	v_mov_b32_e32 v3, 0
	s_delay_alu instid0(VALU_DEP_3) | instskip(NEXT) | instid1(VALU_DEP_1)
	v_dual_mov_b32 v4, 0 :: v_dual_mov_b32 v41, v1
	v_dual_mov_b32 v7, v40 :: v_dual_mov_b32 v8, v41
	s_waitcnt lgkmcnt(0)
	v_cmp_lt_u64_e64 s2, s[6:7], 2
	s_delay_alu instid0(VALU_DEP_1)
	s_and_b32 vcc_lo, exec_lo, s2
	s_cbranch_vccnz .LBB0_8
; %bb.1:
	s_load_b64 s[2:3], s[0:1], 0x10
	v_mov_b32_e32 v3, 0
	v_dual_mov_b32 v4, 0 :: v_dual_mov_b32 v5, v40
	s_add_u32 s12, s10, 8
	v_mov_b32_e32 v6, v41
	s_addc_u32 s13, s11, 0
	s_mov_b64 s[16:17], 1
	s_waitcnt lgkmcnt(0)
	s_add_u32 s14, s2, 8
	s_addc_u32 s15, s3, 0
.LBB0_2:                                ; =>This Inner Loop Header: Depth=1
	s_load_b64 s[18:19], s[14:15], 0x0
                                        ; implicit-def: $vgpr7_vgpr8
	s_mov_b32 s2, exec_lo
	s_waitcnt lgkmcnt(0)
	v_or_b32_e32 v2, s19, v6
	s_delay_alu instid0(VALU_DEP_1)
	v_cmpx_ne_u64_e32 0, v[1:2]
	s_xor_b32 s3, exec_lo, s2
	s_cbranch_execz .LBB0_4
; %bb.3:                                ;   in Loop: Header=BB0_2 Depth=1
	v_cvt_f32_u32_e32 v2, s18
	v_cvt_f32_u32_e32 v7, s19
	s_sub_u32 s2, 0, s18
	s_subb_u32 s20, 0, s19
	s_delay_alu instid0(VALU_DEP_1) | instskip(NEXT) | instid1(VALU_DEP_1)
	v_fmac_f32_e32 v2, 0x4f800000, v7
	v_rcp_f32_e32 v2, v2
	s_waitcnt_depctr 0xfff
	v_mul_f32_e32 v2, 0x5f7ffffc, v2
	s_delay_alu instid0(VALU_DEP_1) | instskip(NEXT) | instid1(VALU_DEP_1)
	v_mul_f32_e32 v7, 0x2f800000, v2
	v_trunc_f32_e32 v7, v7
	s_delay_alu instid0(VALU_DEP_1) | instskip(SKIP_1) | instid1(VALU_DEP_2)
	v_fmac_f32_e32 v2, 0xcf800000, v7
	v_cvt_u32_f32_e32 v7, v7
	v_cvt_u32_f32_e32 v2, v2
	s_delay_alu instid0(VALU_DEP_2) | instskip(NEXT) | instid1(VALU_DEP_2)
	v_mul_lo_u32 v8, s2, v7
	v_mul_hi_u32 v9, s2, v2
	v_mul_lo_u32 v10, s20, v2
	s_delay_alu instid0(VALU_DEP_2) | instskip(SKIP_1) | instid1(VALU_DEP_2)
	v_add_nc_u32_e32 v8, v9, v8
	v_mul_lo_u32 v9, s2, v2
	v_add_nc_u32_e32 v8, v8, v10
	s_delay_alu instid0(VALU_DEP_2) | instskip(NEXT) | instid1(VALU_DEP_2)
	v_mul_hi_u32 v10, v2, v9
	v_mul_lo_u32 v11, v2, v8
	v_mul_hi_u32 v12, v2, v8
	v_mul_hi_u32 v13, v7, v9
	v_mul_lo_u32 v9, v7, v9
	v_mul_hi_u32 v14, v7, v8
	v_mul_lo_u32 v8, v7, v8
	v_add_co_u32 v10, vcc_lo, v10, v11
	v_add_co_ci_u32_e32 v11, vcc_lo, 0, v12, vcc_lo
	s_delay_alu instid0(VALU_DEP_2) | instskip(NEXT) | instid1(VALU_DEP_2)
	v_add_co_u32 v9, vcc_lo, v10, v9
	v_add_co_ci_u32_e32 v9, vcc_lo, v11, v13, vcc_lo
	v_add_co_ci_u32_e32 v10, vcc_lo, 0, v14, vcc_lo
	s_delay_alu instid0(VALU_DEP_2) | instskip(NEXT) | instid1(VALU_DEP_2)
	v_add_co_u32 v8, vcc_lo, v9, v8
	v_add_co_ci_u32_e32 v9, vcc_lo, 0, v10, vcc_lo
	s_delay_alu instid0(VALU_DEP_2) | instskip(NEXT) | instid1(VALU_DEP_2)
	v_add_co_u32 v2, vcc_lo, v2, v8
	v_add_co_ci_u32_e32 v7, vcc_lo, v7, v9, vcc_lo
	s_delay_alu instid0(VALU_DEP_2) | instskip(SKIP_1) | instid1(VALU_DEP_3)
	v_mul_hi_u32 v8, s2, v2
	v_mul_lo_u32 v10, s20, v2
	v_mul_lo_u32 v9, s2, v7
	s_delay_alu instid0(VALU_DEP_1) | instskip(SKIP_1) | instid1(VALU_DEP_2)
	v_add_nc_u32_e32 v8, v8, v9
	v_mul_lo_u32 v9, s2, v2
	v_add_nc_u32_e32 v8, v8, v10
	s_delay_alu instid0(VALU_DEP_2) | instskip(NEXT) | instid1(VALU_DEP_2)
	v_mul_hi_u32 v10, v2, v9
	v_mul_lo_u32 v11, v2, v8
	v_mul_hi_u32 v12, v2, v8
	v_mul_hi_u32 v13, v7, v9
	v_mul_lo_u32 v9, v7, v9
	v_mul_hi_u32 v14, v7, v8
	v_mul_lo_u32 v8, v7, v8
	v_add_co_u32 v10, vcc_lo, v10, v11
	v_add_co_ci_u32_e32 v11, vcc_lo, 0, v12, vcc_lo
	s_delay_alu instid0(VALU_DEP_2) | instskip(NEXT) | instid1(VALU_DEP_2)
	v_add_co_u32 v9, vcc_lo, v10, v9
	v_add_co_ci_u32_e32 v9, vcc_lo, v11, v13, vcc_lo
	v_add_co_ci_u32_e32 v10, vcc_lo, 0, v14, vcc_lo
	s_delay_alu instid0(VALU_DEP_2) | instskip(NEXT) | instid1(VALU_DEP_2)
	v_add_co_u32 v8, vcc_lo, v9, v8
	v_add_co_ci_u32_e32 v9, vcc_lo, 0, v10, vcc_lo
	s_delay_alu instid0(VALU_DEP_2) | instskip(NEXT) | instid1(VALU_DEP_2)
	v_add_co_u32 v2, vcc_lo, v2, v8
	v_add_co_ci_u32_e32 v13, vcc_lo, v7, v9, vcc_lo
	s_delay_alu instid0(VALU_DEP_2) | instskip(SKIP_1) | instid1(VALU_DEP_3)
	v_mul_hi_u32 v14, v5, v2
	v_mad_u64_u32 v[9:10], null, v6, v2, 0
	v_mad_u64_u32 v[7:8], null, v5, v13, 0
	;; [unrolled: 1-line block ×3, first 2 shown]
	s_delay_alu instid0(VALU_DEP_2) | instskip(NEXT) | instid1(VALU_DEP_3)
	v_add_co_u32 v2, vcc_lo, v14, v7
	v_add_co_ci_u32_e32 v7, vcc_lo, 0, v8, vcc_lo
	s_delay_alu instid0(VALU_DEP_2) | instskip(NEXT) | instid1(VALU_DEP_2)
	v_add_co_u32 v2, vcc_lo, v2, v9
	v_add_co_ci_u32_e32 v2, vcc_lo, v7, v10, vcc_lo
	v_add_co_ci_u32_e32 v7, vcc_lo, 0, v12, vcc_lo
	s_delay_alu instid0(VALU_DEP_2) | instskip(NEXT) | instid1(VALU_DEP_2)
	v_add_co_u32 v2, vcc_lo, v2, v11
	v_add_co_ci_u32_e32 v9, vcc_lo, 0, v7, vcc_lo
	s_delay_alu instid0(VALU_DEP_2) | instskip(SKIP_1) | instid1(VALU_DEP_3)
	v_mul_lo_u32 v10, s19, v2
	v_mad_u64_u32 v[7:8], null, s18, v2, 0
	v_mul_lo_u32 v11, s18, v9
	s_delay_alu instid0(VALU_DEP_2) | instskip(NEXT) | instid1(VALU_DEP_2)
	v_sub_co_u32 v7, vcc_lo, v5, v7
	v_add3_u32 v8, v8, v11, v10
	s_delay_alu instid0(VALU_DEP_1) | instskip(NEXT) | instid1(VALU_DEP_1)
	v_sub_nc_u32_e32 v10, v6, v8
	v_subrev_co_ci_u32_e64 v10, s2, s19, v10, vcc_lo
	v_add_co_u32 v11, s2, v2, 2
	s_delay_alu instid0(VALU_DEP_1) | instskip(SKIP_3) | instid1(VALU_DEP_3)
	v_add_co_ci_u32_e64 v12, s2, 0, v9, s2
	v_sub_co_u32 v13, s2, v7, s18
	v_sub_co_ci_u32_e32 v8, vcc_lo, v6, v8, vcc_lo
	v_subrev_co_ci_u32_e64 v10, s2, 0, v10, s2
	v_cmp_le_u32_e32 vcc_lo, s18, v13
	s_delay_alu instid0(VALU_DEP_3) | instskip(SKIP_1) | instid1(VALU_DEP_4)
	v_cmp_eq_u32_e64 s2, s19, v8
	v_cndmask_b32_e64 v13, 0, -1, vcc_lo
	v_cmp_le_u32_e32 vcc_lo, s19, v10
	v_cndmask_b32_e64 v14, 0, -1, vcc_lo
	v_cmp_le_u32_e32 vcc_lo, s18, v7
	;; [unrolled: 2-line block ×3, first 2 shown]
	v_cndmask_b32_e64 v15, 0, -1, vcc_lo
	v_cmp_eq_u32_e32 vcc_lo, s19, v10
	s_delay_alu instid0(VALU_DEP_2) | instskip(SKIP_3) | instid1(VALU_DEP_3)
	v_cndmask_b32_e64 v7, v15, v7, s2
	v_cndmask_b32_e32 v10, v14, v13, vcc_lo
	v_add_co_u32 v13, vcc_lo, v2, 1
	v_add_co_ci_u32_e32 v14, vcc_lo, 0, v9, vcc_lo
	v_cmp_ne_u32_e32 vcc_lo, 0, v10
	s_delay_alu instid0(VALU_DEP_2) | instskip(NEXT) | instid1(VALU_DEP_4)
	v_cndmask_b32_e32 v8, v14, v12, vcc_lo
	v_cndmask_b32_e32 v10, v13, v11, vcc_lo
	v_cmp_ne_u32_e32 vcc_lo, 0, v7
	s_delay_alu instid0(VALU_DEP_2)
	v_dual_cndmask_b32 v7, v2, v10 :: v_dual_cndmask_b32 v8, v9, v8
.LBB0_4:                                ;   in Loop: Header=BB0_2 Depth=1
	s_and_not1_saveexec_b32 s2, s3
	s_cbranch_execz .LBB0_6
; %bb.5:                                ;   in Loop: Header=BB0_2 Depth=1
	v_cvt_f32_u32_e32 v2, s18
	s_sub_i32 s3, 0, s18
	s_delay_alu instid0(VALU_DEP_1) | instskip(SKIP_2) | instid1(VALU_DEP_1)
	v_rcp_iflag_f32_e32 v2, v2
	s_waitcnt_depctr 0xfff
	v_mul_f32_e32 v2, 0x4f7ffffe, v2
	v_cvt_u32_f32_e32 v2, v2
	s_delay_alu instid0(VALU_DEP_1) | instskip(NEXT) | instid1(VALU_DEP_1)
	v_mul_lo_u32 v7, s3, v2
	v_mul_hi_u32 v7, v2, v7
	s_delay_alu instid0(VALU_DEP_1) | instskip(NEXT) | instid1(VALU_DEP_1)
	v_add_nc_u32_e32 v2, v2, v7
	v_mul_hi_u32 v2, v5, v2
	s_delay_alu instid0(VALU_DEP_1) | instskip(SKIP_1) | instid1(VALU_DEP_2)
	v_mul_lo_u32 v7, v2, s18
	v_add_nc_u32_e32 v8, 1, v2
	v_sub_nc_u32_e32 v7, v5, v7
	s_delay_alu instid0(VALU_DEP_1) | instskip(SKIP_1) | instid1(VALU_DEP_2)
	v_subrev_nc_u32_e32 v9, s18, v7
	v_cmp_le_u32_e32 vcc_lo, s18, v7
	v_dual_cndmask_b32 v7, v7, v9 :: v_dual_cndmask_b32 v2, v2, v8
	s_delay_alu instid0(VALU_DEP_1) | instskip(NEXT) | instid1(VALU_DEP_2)
	v_cmp_le_u32_e32 vcc_lo, s18, v7
	v_add_nc_u32_e32 v8, 1, v2
	s_delay_alu instid0(VALU_DEP_1)
	v_dual_cndmask_b32 v7, v2, v8 :: v_dual_mov_b32 v8, v1
.LBB0_6:                                ;   in Loop: Header=BB0_2 Depth=1
	s_or_b32 exec_lo, exec_lo, s2
	s_load_b64 s[2:3], s[12:13], 0x0
	s_delay_alu instid0(VALU_DEP_1) | instskip(NEXT) | instid1(VALU_DEP_2)
	v_mul_lo_u32 v2, v8, s18
	v_mul_lo_u32 v11, v7, s19
	v_mad_u64_u32 v[9:10], null, v7, s18, 0
	s_add_u32 s16, s16, 1
	s_addc_u32 s17, s17, 0
	s_add_u32 s12, s12, 8
	s_addc_u32 s13, s13, 0
	;; [unrolled: 2-line block ×3, first 2 shown]
	s_delay_alu instid0(VALU_DEP_1) | instskip(SKIP_1) | instid1(VALU_DEP_2)
	v_add3_u32 v2, v10, v11, v2
	v_sub_co_u32 v9, vcc_lo, v5, v9
	v_sub_co_ci_u32_e32 v2, vcc_lo, v6, v2, vcc_lo
	s_waitcnt lgkmcnt(0)
	s_delay_alu instid0(VALU_DEP_2) | instskip(NEXT) | instid1(VALU_DEP_2)
	v_mul_lo_u32 v10, s3, v9
	v_mul_lo_u32 v2, s2, v2
	v_mad_u64_u32 v[5:6], null, s2, v9, v[3:4]
	v_cmp_ge_u64_e64 s2, s[16:17], s[6:7]
	s_delay_alu instid0(VALU_DEP_1) | instskip(NEXT) | instid1(VALU_DEP_2)
	s_and_b32 vcc_lo, exec_lo, s2
	v_add3_u32 v4, v10, v6, v2
	s_delay_alu instid0(VALU_DEP_3)
	v_mov_b32_e32 v3, v5
	s_cbranch_vccnz .LBB0_8
; %bb.7:                                ;   in Loop: Header=BB0_2 Depth=1
	v_dual_mov_b32 v5, v7 :: v_dual_mov_b32 v6, v8
	s_branch .LBB0_2
.LBB0_8:
	s_lshl_b64 s[2:3], s[6:7], 3
                                        ; implicit-def: $vgpr18_vgpr19
                                        ; implicit-def: $vgpr22_vgpr23
                                        ; implicit-def: $vgpr30_vgpr31
                                        ; implicit-def: $vgpr38_vgpr39
                                        ; implicit-def: $vgpr34_vgpr35
                                        ; implicit-def: $vgpr14_vgpr15
                                        ; implicit-def: $vgpr26_vgpr27
                                        ; implicit-def: $vgpr10_vgpr11
	s_delay_alu instid0(SALU_CYCLE_1)
	s_add_u32 s2, s10, s2
	s_addc_u32 s3, s11, s3
	s_load_b64 s[2:3], s[2:3], 0x0
	s_load_b64 s[0:1], s[0:1], 0x20
	s_waitcnt lgkmcnt(0)
	v_mul_lo_u32 v5, s2, v8
	v_mul_lo_u32 v6, s3, v7
	v_mad_u64_u32 v[1:2], null, s2, v7, v[3:4]
	v_mul_hi_u32 v3, 0x3f03f04, v0
	v_cmp_gt_u64_e32 vcc_lo, s[0:1], v[7:8]
	s_delay_alu instid0(VALU_DEP_3) | instskip(NEXT) | instid1(VALU_DEP_3)
	v_add3_u32 v2, v6, v2, v5
                                        ; implicit-def: $vgpr6_vgpr7
	v_mul_u32_u24_e32 v3, 0x41, v3
	s_delay_alu instid0(VALU_DEP_2) | instskip(NEXT) | instid1(VALU_DEP_2)
	v_lshlrev_b64 v[113:114], 4, v[1:2]
	v_sub_nc_u32_e32 v102, v0, v3
                                        ; implicit-def: $vgpr2_vgpr3
	s_and_saveexec_b32 s1, vcc_lo
	s_cbranch_execz .LBB0_10
; %bb.9:
	v_mov_b32_e32 v103, 0
	s_delay_alu instid0(VALU_DEP_3) | instskip(NEXT) | instid1(VALU_DEP_1)
	v_add_co_u32 v2, s0, s8, v113
	v_add_co_ci_u32_e64 v3, s0, s9, v114, s0
	s_delay_alu instid0(VALU_DEP_3) | instskip(NEXT) | instid1(VALU_DEP_1)
	v_lshlrev_b64 v[0:1], 4, v[102:103]
	v_add_co_u32 v0, s0, v2, v0
	s_delay_alu instid0(VALU_DEP_1)
	v_add_co_ci_u32_e64 v1, s0, v3, v1, s0
	s_clause 0x3
	global_load_b128 v[8:11], v[0:1], off
	global_load_b128 v[24:27], v[0:1], off offset:1040
	global_load_b128 v[12:15], v[0:1], off offset:2080
	;; [unrolled: 1-line block ×3, first 2 shown]
	v_add_co_u32 v2, s0, 0x1000, v0
	s_delay_alu instid0(VALU_DEP_1) | instskip(SKIP_1) | instid1(VALU_DEP_1)
	v_add_co_ci_u32_e64 v3, s0, 0, v1, s0
	v_add_co_u32 v4, s0, 0x2000, v0
	v_add_co_ci_u32_e64 v5, s0, 0, v1, s0
	s_clause 0x5
	global_load_b128 v[36:39], v[2:3], off offset:64
	global_load_b128 v[28:31], v[2:3], off offset:1104
	global_load_b128 v[20:23], v[2:3], off offset:2144
	global_load_b128 v[16:19], v[2:3], off offset:3184
	global_load_b128 v[0:3], v[4:5], off offset:128
	global_load_b128 v[4:7], v[4:5], off offset:1168
.LBB0_10:
	s_or_b32 exec_lo, exec_lo, s1
	s_waitcnt vmcnt(2)
	v_add_f64 v[41:42], v[16:17], v[28:29]
	s_waitcnt vmcnt(0)
	v_add_f64 v[43:44], v[4:5], v[32:33]
	v_add_f64 v[45:46], v[6:7], v[34:35]
	;; [unrolled: 1-line block ×3, first 2 shown]
	v_add_f64 v[49:50], v[34:35], -v[6:7]
	v_add_f64 v[51:52], v[30:31], -v[18:19]
	;; [unrolled: 1-line block ×4, first 2 shown]
	s_mov_b32 s0, 0x134454ff
	s_mov_b32 s1, 0x3fee6f0e
	;; [unrolled: 1-line block ×4, first 2 shown]
	v_add_f64 v[57:58], v[20:21], v[36:37]
	v_add_f64 v[59:60], v[0:1], v[12:13]
	;; [unrolled: 1-line block ×4, first 2 shown]
	v_add_f64 v[65:66], v[32:33], -v[28:29]
	v_add_f64 v[67:68], v[4:5], -v[16:17]
	;; [unrolled: 1-line block ×8, first 2 shown]
	s_mov_b32 s6, 0x4755a5e
	s_mov_b32 s7, 0x3fe2cf23
	;; [unrolled: 1-line block ×4, first 2 shown]
	v_add_f64 v[89:90], v[14:15], -v[2:3]
	v_add_f64 v[91:92], v[38:39], -v[22:23]
	;; [unrolled: 1-line block ×4, first 2 shown]
	s_mov_b32 s12, 0x372fe950
	s_mov_b32 s13, 0x3fd3c6ef
	;; [unrolled: 1-line block ×4, first 2 shown]
	v_fma_f64 v[41:42], v[41:42], -0.5, v[24:25]
	v_fma_f64 v[43:44], v[43:44], -0.5, v[24:25]
	;; [unrolled: 1-line block ×4, first 2 shown]
	v_add_f64 v[24:25], v[32:33], v[24:25]
	v_add_f64 v[26:27], v[34:35], v[26:27]
	;; [unrolled: 1-line block ×4, first 2 shown]
	v_fma_f64 v[57:58], v[57:58], -0.5, v[8:9]
	v_fma_f64 v[8:9], v[59:60], -0.5, v[8:9]
	;; [unrolled: 1-line block ×4, first 2 shown]
	v_add_f64 v[61:62], v[67:68], v[65:66]
	v_add_f64 v[63:64], v[71:72], v[69:70]
	v_fma_f64 v[77:78], v[49:50], s[0:1], v[41:42]
	v_fma_f64 v[79:80], v[51:52], s[2:3], v[43:44]
	;; [unrolled: 1-line block ×8, first 2 shown]
	v_add_f64 v[32:33], v[36:37], v[32:33]
	v_add_f64 v[34:35], v[38:39], v[34:35]
	;; [unrolled: 1-line block ×4, first 2 shown]
	v_fma_f64 v[28:29], v[89:90], s[0:1], v[57:58]
	v_fma_f64 v[30:31], v[89:90], s[2:3], v[57:58]
	;; [unrolled: 1-line block ×7, first 2 shown]
	v_add_f64 v[51:52], v[83:84], v[81:82]
	v_fma_f64 v[69:70], v[53:54], s[6:7], v[85:86]
	v_add_f64 v[49:50], v[75:76], v[73:74]
	v_fma_f64 v[71:72], v[55:56], s[6:7], v[87:88]
	v_add_f64 v[73:74], v[12:13], -v[36:37]
	v_add_f64 v[75:76], v[0:1], -v[20:21]
	;; [unrolled: 1-line block ×6, first 2 shown]
	v_fma_f64 v[36:37], v[91:92], s[2:3], v[8:9]
	v_fma_f64 v[38:39], v[93:94], s[2:3], v[59:60]
	;; [unrolled: 1-line block ×4, first 2 shown]
	v_add_f64 v[79:80], v[20:21], -v[0:1]
	v_add_f64 v[83:84], v[22:23], -v[2:3]
	v_fma_f64 v[59:60], v[95:96], s[0:1], v[10:11]
	v_fma_f64 v[8:9], v[91:92], s[0:1], v[8:9]
	;; [unrolled: 1-line block ×3, first 2 shown]
	v_add_f64 v[20:21], v[20:21], v[32:33]
	v_add_f64 v[22:23], v[22:23], v[34:35]
	;; [unrolled: 1-line block ×4, first 2 shown]
	v_fma_f64 v[24:25], v[91:92], s[6:7], v[28:29]
	v_fma_f64 v[26:27], v[91:92], s[10:11], v[30:31]
	v_fma_f64 v[32:33], v[95:96], s[6:7], v[57:58]
	v_fma_f64 v[53:54], v[61:62], s[12:13], v[65:66]
	v_fma_f64 v[55:56], v[63:64], s[12:13], v[67:68]
	v_fma_f64 v[43:44], v[63:64], s[12:13], v[43:44]
	v_fma_f64 v[41:42], v[61:62], s[12:13], v[41:42]
	v_fma_f64 v[61:62], v[51:52], s[12:13], v[69:70]
	v_fma_f64 v[63:64], v[49:50], s[12:13], v[71:72]
	v_add_f64 v[65:66], v[75:76], v[73:74]
	v_add_f64 v[67:68], v[81:82], v[77:78]
	v_fma_f64 v[28:29], v[89:90], s[6:7], v[36:37]
	v_fma_f64 v[30:31], v[95:96], s[10:11], v[38:39]
	;; [unrolled: 1-line block ×4, first 2 shown]
	v_add_f64 v[12:13], v[79:80], v[12:13]
	v_add_f64 v[14:15], v[83:84], v[14:15]
	v_fma_f64 v[34:35], v[93:94], s[10:11], v[59:60]
	v_fma_f64 v[8:9], v[89:90], s[10:11], v[8:9]
	;; [unrolled: 1-line block ×3, first 2 shown]
	v_add_f64 v[20:21], v[0:1], v[20:21]
	v_add_f64 v[22:23], v[2:3], v[22:23]
	;; [unrolled: 1-line block ×4, first 2 shown]
	v_mul_hi_u32 v0, 0xaaaaaaab, v40
	s_delay_alu instid0(VALU_DEP_1)
	v_lshrrev_b32_e32 v0, 1, v0
	v_mul_f64 v[45:46], v[53:54], s[14:15]
	v_mul_f64 v[47:48], v[55:56], s[12:13]
	;; [unrolled: 1-line block ×8, first 2 shown]
	v_fma_f64 v[24:25], v[65:66], s[12:13], v[24:25]
	v_fma_f64 v[26:27], v[65:66], s[12:13], v[26:27]
	;; [unrolled: 1-line block ×8, first 2 shown]
	v_add_f64 v[2:3], v[6:7], v[22:23]
	v_add_f64 v[6:7], v[22:23], -v[6:7]
	v_fma_f64 v[32:33], v[36:37], s[6:7], v[45:46]
	v_fma_f64 v[45:46], v[38:39], s[0:1], v[47:48]
	v_fma_f64 v[47:48], v[61:62], s[0:1], -v[49:50]
	v_fma_f64 v[49:50], v[63:64], s[6:7], -v[51:52]
	v_fma_f64 v[51:52], v[36:37], s[14:15], v[53:54]
	v_fma_f64 v[38:39], v[38:39], s[12:13], v[55:56]
	v_fma_f64 v[43:44], v[43:44], s[2:3], -v[57:58]
	v_fma_f64 v[41:42], v[41:42], s[10:11], -v[59:60]
	v_lshl_add_u32 v55, v0, 1, v0
	v_add_f64 v[0:1], v[4:5], v[20:21]
	v_and_b32_e32 v53, 0xff, v102
	v_add_nc_u16 v54, v102, 0x41
	v_add_f64 v[4:5], v[20:21], -v[4:5]
	v_sub_nc_u32_e32 v40, v40, v55
	s_delay_alu instid0(VALU_DEP_1) | instskip(NEXT) | instid1(VALU_DEP_1)
	v_mul_u32_u24_e32 v40, 0x28a, v40
	v_lshlrev_b32_e32 v101, 4, v40
	v_mul_u32_u24_e32 v40, 10, v102
	s_delay_alu instid0(VALU_DEP_2) | instskip(NEXT) | instid1(VALU_DEP_1)
	v_add_nc_u32_e32 v81, 0, v101
	v_lshl_add_u32 v40, v40, 4, v81
	v_add_f64 v[8:9], v[24:25], v[32:33]
	v_add_f64 v[12:13], v[28:29], v[45:46]
	;; [unrolled: 1-line block ×8, first 2 shown]
	v_add_f64 v[24:25], v[24:25], -v[32:33]
	v_add_f64 v[36:37], v[26:27], -v[49:50]
	;; [unrolled: 1-line block ×8, first 2 shown]
	v_mul_lo_u16 v41, 0xcd, v53
	v_and_b32_e32 v42, 0xff, v54
	v_mad_i32_i24 v48, 0xffffff70, v102, v40
	ds_store_b128 v40, v[0:3]
	ds_store_b128 v40, v[8:11] offset:16
	ds_store_b128 v40, v[12:15] offset:32
	;; [unrolled: 1-line block ×9, first 2 shown]
	v_lshrrev_b16 v99, 11, v41
	v_mul_lo_u16 v41, 0xcd, v42
	s_waitcnt lgkmcnt(0)
	s_barrier
	buffer_gl0_inv
	v_mul_lo_u16 v42, v99, 10
	v_lshrrev_b16 v100, 11, v41
	s_delay_alu instid0(VALU_DEP_2) | instskip(NEXT) | instid1(VALU_DEP_2)
	v_sub_nc_u16 v41, v102, v42
	v_mul_lo_u16 v42, v100, 10
	s_delay_alu instid0(VALU_DEP_2) | instskip(NEXT) | instid1(VALU_DEP_2)
	v_and_b32_e32 v111, 0xff, v41
	v_sub_nc_u16 v41, v54, v42
	s_delay_alu instid0(VALU_DEP_2) | instskip(NEXT) | instid1(VALU_DEP_2)
	v_lshlrev_b32_e32 v42, 6, v111
	v_and_b32_e32 v112, 0xff, v41
	s_clause 0x2
	global_load_b128 v[0:3], v42, s[4:5]
	global_load_b128 v[4:7], v42, s[4:5] offset:16
	global_load_b128 v[8:11], v42, s[4:5] offset:32
	v_lshlrev_b32_e32 v28, 6, v112
	s_clause 0x4
	global_load_b128 v[12:15], v42, s[4:5] offset:48
	global_load_b128 v[16:19], v28, s[4:5]
	global_load_b128 v[20:23], v28, s[4:5] offset:16
	global_load_b128 v[24:27], v28, s[4:5] offset:32
	;; [unrolled: 1-line block ×3, first 2 shown]
	ds_load_b128 v[32:35], v48 offset:2080
	ds_load_b128 v[36:39], v48 offset:4160
	;; [unrolled: 1-line block ×8, first 2 shown]
	s_waitcnt vmcnt(7) lgkmcnt(7)
	v_mul_f64 v[65:66], v[34:35], v[2:3]
	s_waitcnt vmcnt(6) lgkmcnt(6)
	v_mul_f64 v[67:68], v[38:39], v[6:7]
	;; [unrolled: 2-line block ×3, first 2 shown]
	v_mul_f64 v[2:3], v[32:33], v[2:3]
	s_waitcnt vmcnt(4) lgkmcnt(4)
	v_mul_f64 v[71:72], v[46:47], v[14:15]
	v_mul_f64 v[6:7], v[36:37], v[6:7]
	;; [unrolled: 1-line block ×4, first 2 shown]
	s_waitcnt vmcnt(3) lgkmcnt(3)
	v_mul_f64 v[73:74], v[51:52], v[18:19]
	s_waitcnt vmcnt(2) lgkmcnt(2)
	v_mul_f64 v[75:76], v[55:56], v[22:23]
	;; [unrolled: 2-line block ×3, first 2 shown]
	v_mul_f64 v[22:23], v[53:54], v[22:23]
	s_waitcnt vmcnt(0) lgkmcnt(0)
	v_mul_f64 v[79:80], v[63:64], v[30:31]
	v_mul_f64 v[26:27], v[57:58], v[26:27]
	;; [unrolled: 1-line block ×4, first 2 shown]
	v_fma_f64 v[32:33], v[32:33], v[0:1], -v[65:66]
	v_fma_f64 v[36:37], v[36:37], v[4:5], -v[67:68]
	;; [unrolled: 1-line block ×3, first 2 shown]
	v_fma_f64 v[34:35], v[34:35], v[0:1], v[2:3]
	v_fma_f64 v[44:45], v[44:45], v[12:13], -v[71:72]
	v_fma_f64 v[38:39], v[38:39], v[4:5], v[6:7]
	v_fma_f64 v[8:9], v[42:43], v[8:9], v[10:11]
	;; [unrolled: 1-line block ×3, first 2 shown]
	v_fma_f64 v[12:13], v[49:50], v[16:17], -v[73:74]
	v_fma_f64 v[14:15], v[53:54], v[20:21], -v[75:76]
	;; [unrolled: 1-line block ×3, first 2 shown]
	v_fma_f64 v[20:21], v[55:56], v[20:21], v[22:23]
	v_fma_f64 v[22:23], v[61:62], v[28:29], -v[79:80]
	v_fma_f64 v[24:25], v[59:60], v[24:25], v[26:27]
	v_fma_f64 v[16:17], v[51:52], v[16:17], v[18:19]
	;; [unrolled: 1-line block ×3, first 2 shown]
	v_lshl_add_u32 v28, v102, 4, v81
	ds_load_b128 v[4:7], v48 offset:1040
	ds_load_b128 v[0:3], v28
	s_waitcnt lgkmcnt(0)
	s_barrier
	buffer_gl0_inv
	v_add_f64 v[26:27], v[36:37], v[40:41]
	v_add_f64 v[59:60], v[0:1], v[32:33]
	;; [unrolled: 1-line block ×7, first 2 shown]
	v_add_f64 v[67:68], v[34:35], -v[10:11]
	v_add_f64 v[51:52], v[14:15], v[42:43]
	v_add_f64 v[69:70], v[38:39], -v[8:9]
	v_add_f64 v[53:54], v[12:13], v[22:23]
	v_add_f64 v[55:56], v[20:21], v[24:25]
	;; [unrolled: 1-line block ×4, first 2 shown]
	v_add_f64 v[71:72], v[32:33], -v[44:45]
	v_add_f64 v[73:74], v[16:17], -v[18:19]
	;; [unrolled: 1-line block ×16, first 2 shown]
	v_fma_f64 v[26:27], v[26:27], -0.5, v[0:1]
	v_fma_f64 v[0:1], v[29:30], -0.5, v[0:1]
	v_add_f64 v[29:30], v[36:37], -v[40:41]
	v_fma_f64 v[46:47], v[46:47], -0.5, v[2:3]
	v_fma_f64 v[2:3], v[49:50], -0.5, v[2:3]
	v_add_f64 v[49:50], v[20:21], -v[24:25]
	;; [unrolled: 3-line block ×4, first 2 shown]
	v_add_f64 v[31:32], v[36:37], -v[32:33]
	v_add_f64 v[33:34], v[38:39], -v[34:35]
	v_add_f64 v[35:36], v[59:60], v[36:37]
	v_add_f64 v[37:38], v[61:62], v[38:39]
	;; [unrolled: 1-line block ×4, first 2 shown]
	v_fma_f64 v[59:60], v[67:68], s[0:1], v[26:27]
	v_fma_f64 v[26:27], v[67:68], s[2:3], v[26:27]
	;; [unrolled: 1-line block ×16, first 2 shown]
	v_add_f64 v[57:58], v[57:58], v[77:78]
	v_add_f64 v[77:78], v[31:32], v[79:80]
	;; [unrolled: 1-line block ×12, first 2 shown]
	v_lshlrev_b32_e32 v31, 4, v111
	v_cmp_gt_u32_e64 s0, 50, v102
	v_fma_f64 v[20:21], v[69:70], s[6:7], v[59:60]
	v_fma_f64 v[24:25], v[69:70], s[10:11], v[26:27]
	;; [unrolled: 1-line block ×16, first 2 shown]
	v_add_f64 v[0:1], v[12:13], v[44:45]
	v_add_f64 v[2:3], v[8:9], v[10:11]
	;; [unrolled: 1-line block ×4, first 2 shown]
	v_lshlrev_b32_e32 v44, 4, v112
	v_fma_f64 v[16:17], v[57:58], s[12:13], v[20:21]
	v_fma_f64 v[24:25], v[57:58], s[12:13], v[24:25]
	;; [unrolled: 1-line block ×16, first 2 shown]
	v_and_b32_e32 v29, 0xffff, v99
	v_and_b32_e32 v30, 0xffff, v100
                                        ; implicit-def: $vgpr50_vgpr51
                                        ; implicit-def: $vgpr46_vgpr47
	s_delay_alu instid0(VALU_DEP_2) | instskip(NEXT) | instid1(VALU_DEP_2)
	v_mad_u32_u24 v29, 0x320, v29, 0
	v_mad_u32_u24 v30, 0x320, v30, 0
	s_delay_alu instid0(VALU_DEP_2) | instskip(NEXT) | instid1(VALU_DEP_2)
	v_add3_u32 v29, v29, v31, v101
	v_add3_u32 v30, v30, v44, v101
	ds_store_b128 v29, v[0:3]
	ds_store_b128 v29, v[16:19] offset:160
	ds_store_b128 v29, v[4:7] offset:320
	;; [unrolled: 1-line block ×4, first 2 shown]
	ds_store_b128 v30, v[32:35]
	ds_store_b128 v30, v[8:11] offset:160
	ds_store_b128 v30, v[12:15] offset:320
	;; [unrolled: 1-line block ×4, first 2 shown]
	s_waitcnt lgkmcnt(0)
	s_barrier
	buffer_gl0_inv
                                        ; implicit-def: $vgpr30_vgpr31
	s_and_saveexec_b32 s1, s0
	s_cbranch_execnz .LBB0_13
; %bb.11:
	s_or_b32 exec_lo, exec_lo, s1
	s_and_b32 s0, vcc_lo, s0
	s_delay_alu instid0(SALU_CYCLE_1)
	s_and_saveexec_b32 s1, s0
	s_cbranch_execnz .LBB0_14
.LBB0_12:
	s_endpgm
.LBB0_13:
	ds_load_b128 v[0:3], v28
	ds_load_b128 v[16:19], v48 offset:800
	ds_load_b128 v[4:7], v48 offset:1600
	;; [unrolled: 1-line block ×12, first 2 shown]
	s_or_b32 exec_lo, exec_lo, s1
	s_and_b32 s0, vcc_lo, s0
	s_delay_alu instid0(SALU_CYCLE_1)
	s_and_saveexec_b32 s1, s0
	s_cbranch_execz .LBB0_12
.LBB0_14:
	v_mul_u32_u24_e32 v52, 12, v102
	s_mov_b32 s0, 0xebaa3ed8
	s_mov_b32 s16, 0x66966769
	;; [unrolled: 1-line block ×4, first 2 shown]
	v_lshlrev_b32_e32 v52, 4, v52
	s_mov_b32 s6, 0x1ea71119
	s_mov_b32 s2, 0x93053d00
	;; [unrolled: 1-line block ×4, first 2 shown]
	s_clause 0xb
	global_load_b128 v[68:71], v52, s[4:5] offset:640
	global_load_b128 v[80:83], v52, s[4:5] offset:816
	;; [unrolled: 1-line block ×12, first 2 shown]
	scratch_store_b64 off, v[113:114], off  ; 8-byte Folded Spill
	s_mov_b32 s4, 0xd0032e0c
	s_mov_b32 s26, 0x24c2f84
	;; [unrolled: 1-line block ×28, first 2 shown]
	s_waitcnt vmcnt(11) lgkmcnt(11)
	v_mul_f64 v[123:124], v[18:19], v[70:71]
	v_mul_f64 v[103:104], v[18:19], v[68:69]
	s_waitcnt vmcnt(9) lgkmcnt(7)
	v_mul_f64 v[107:108], v[34:35], v[72:73]
	s_waitcnt vmcnt(8)
	v_mul_f64 v[109:110], v[26:27], v[76:77]
	s_waitcnt lgkmcnt(0)
	v_mul_f64 v[125:126], v[50:51], v[82:83]
	s_waitcnt vmcnt(6)
	v_mul_f64 v[113:114], v[6:7], v[60:61]
	s_waitcnt vmcnt(5)
	v_mul_f64 v[115:116], v[30:31], v[64:65]
	v_mul_f64 v[131:132], v[26:27], v[78:79]
	s_waitcnt vmcnt(3)
	v_mul_f64 v[119:120], v[42:43], v[92:93]
	v_mul_f64 v[133:134], v[42:43], v[94:95]
	;; [unrolled: 1-line block ×7, first 2 shown]
	s_waitcnt vmcnt(2)
	v_mul_f64 v[121:122], v[38:39], v[88:89]
	v_mul_f64 v[127:128], v[22:23], v[86:87]
	v_mul_f64 v[137:138], v[38:39], v[90:91]
	v_mul_f64 v[117:118], v[46:47], v[96:97]
	v_mul_f64 v[129:130], v[46:47], v[98:99]
	v_fma_f64 v[68:69], v[16:17], v[68:69], -v[123:124]
	v_fma_f64 v[70:71], v[16:17], v[70:71], v[103:104]
	v_fma_f64 v[34:35], v[32:33], v[74:75], v[107:108]
	;; [unrolled: 1-line block ×3, first 2 shown]
	s_waitcnt vmcnt(0)
	v_mul_f64 v[74:75], v[14:15], v[52:53]
	v_fma_f64 v[50:51], v[4:5], v[62:63], v[113:114]
	v_fma_f64 v[18:19], v[28:29], v[66:67], v[115:116]
	v_mul_f64 v[66:67], v[10:11], v[58:59]
	v_fma_f64 v[26:27], v[40:41], v[94:95], v[119:120]
	v_mul_f64 v[62:63], v[10:11], v[56:57]
	v_mul_f64 v[78:79], v[14:15], v[54:55]
	v_fma_f64 v[10:11], v[48:49], v[80:81], -v[125:126]
	v_fma_f64 v[42:43], v[24:25], v[76:77], -v[131:132]
	;; [unrolled: 1-line block ×6, first 2 shown]
	v_fma_f64 v[6:7], v[48:49], v[82:83], v[105:106]
	v_fma_f64 v[46:47], v[20:21], v[86:87], v[111:112]
	;; [unrolled: 1-line block ×3, first 2 shown]
	v_fma_f64 v[48:49], v[20:21], v[84:85], -v[127:128]
	v_fma_f64 v[20:21], v[36:37], v[88:89], -v[137:138]
	v_fma_f64 v[22:23], v[44:45], v[98:99], v[117:118]
	v_fma_f64 v[14:15], v[44:45], v[96:97], -v[129:130]
	v_fma_f64 v[28:29], v[12:13], v[54:55], v[74:75]
	v_add_f64 v[54:55], v[2:3], v[70:71]
	v_add_f64 v[64:65], v[50:51], v[18:19]
	v_fma_f64 v[32:33], v[8:9], v[56:57], -v[66:67]
	v_add_f64 v[56:57], v[0:1], v[68:69]
	v_fma_f64 v[36:37], v[8:9], v[58:59], v[62:63]
	v_fma_f64 v[8:9], v[12:13], v[52:53], -v[78:79]
	v_add_f64 v[12:13], v[68:69], -v[10:11]
	v_add_f64 v[52:53], v[68:69], v[10:11]
	v_add_f64 v[76:77], v[38:39], v[26:27]
	v_add_f64 v[62:63], v[42:43], -v[16:17]
	v_add_f64 v[84:85], v[38:39], -v[26:27]
	;; [unrolled: 1-line block ×3, first 2 shown]
	v_add_f64 v[74:75], v[40:41], v[4:5]
	v_add_f64 v[44:45], v[70:71], v[6:7]
	v_add_f64 v[60:61], v[70:71], -v[6:7]
	v_add_f64 v[70:71], v[50:51], -v[18:19]
	v_add_f64 v[80:81], v[34:35], v[30:31]
	v_add_f64 v[72:73], v[46:47], v[22:23]
	v_add_f64 v[78:79], v[46:47], -v[22:23]
	v_add_f64 v[58:59], v[48:49], -v[14:15]
	;; [unrolled: 1-line block ×3, first 2 shown]
	v_add_f64 v[82:83], v[48:49], v[14:15]
	v_add_f64 v[86:87], v[42:43], v[16:17]
	v_add_f64 v[50:51], v[50:51], v[54:55]
	v_mul_f64 v[111:112], v[64:65], s[10:11]
	v_mul_f64 v[119:120], v[64:65], s[0:1]
	v_add_f64 v[40:41], v[40:41], v[56:57]
	v_mul_f64 v[145:146], v[64:65], s[4:5]
	v_mul_f64 v[147:148], v[64:65], s[2:3]
	;; [unrolled: 1-line block ×34, first 2 shown]
	v_add_f64 v[46:47], v[46:47], v[50:51]
	v_mul_f64 v[54:55], v[70:71], s[24:25]
	v_mul_f64 v[56:57], v[70:71], s[38:39]
	v_add_f64 v[40:41], v[48:49], v[40:41]
	v_mul_f64 v[151:152], v[70:71], s[26:27]
	v_mul_f64 v[153:154], v[70:71], s[22:23]
	;; [unrolled: 1-line block ×13, first 2 shown]
	v_fma_f64 v[173:174], v[12:13], s[20:21], v[88:89]
	v_fma_f64 v[88:89], v[12:13], s[22:23], v[88:89]
	;; [unrolled: 1-line block ×13, first 2 shown]
	v_fma_f64 v[98:99], v[52:53], s[2:3], -v[98:99]
	v_fma_f64 v[185:186], v[52:53], s[4:5], v[103:104]
	v_fma_f64 v[103:104], v[52:53], s[4:5], -v[103:104]
	v_fma_f64 v[187:188], v[52:53], s[12:13], v[105:106]
	;; [unrolled: 2-line block ×4, first 2 shown]
	v_add_f64 v[38:39], v[38:39], v[46:47]
	v_fma_f64 v[109:110], v[52:53], s[6:7], -v[109:110]
	v_fma_f64 v[193:194], v[52:53], s[10:11], v[60:61]
	v_add_f64 v[40:41], v[42:43], v[40:41]
	v_fma_f64 v[52:53], v[52:53], s[10:11], -v[60:61]
	v_fma_f64 v[60:61], v[58:59], s[26:27], v[113:114]
	v_fma_f64 v[195:196], v[62:63], s[28:29], v[115:116]
	;; [unrolled: 1-line block ×36, first 2 shown]
	v_add_f64 v[40:41], v[24:25], v[40:41]
	v_fma_f64 v[72:73], v[68:69], s[18:19], v[111:112]
	v_fma_f64 v[50:51], v[68:69], s[24:25], v[111:112]
	;; [unrolled: 1-line block ×13, first 2 shown]
	v_fma_f64 v[54:55], v[74:75], s[10:11], -v[54:55]
	v_fma_f64 v[231:232], v[74:75], s[0:1], v[56:57]
	v_fma_f64 v[56:57], v[74:75], s[0:1], -v[56:57]
	v_fma_f64 v[233:234], v[74:75], s[4:5], v[151:152]
	;; [unrolled: 2-line block ×11, first 2 shown]
	v_fma_f64 v[78:79], v[82:83], s[0:1], -v[78:79]
	v_mul_f64 v[82:83], v[84:85], s[24:25]
	v_mul_f64 v[46:47], v[84:85], s[26:27]
	;; [unrolled: 1-line block ×3, first 2 shown]
	v_add_f64 v[38:39], v[34:35], v[38:39]
	v_add_f64 v[40:41], v[32:33], v[40:41]
	;; [unrolled: 1-line block ×4, first 2 shown]
	v_fma_f64 v[42:43], v[86:87], s[6:7], v[167:168]
	v_fma_f64 v[167:168], v[86:87], s[6:7], -v[167:168]
	v_add_f64 v[88:89], v[2:3], v[88:89]
	v_add_f64 v[98:99], v[0:1], v[98:99]
	;; [unrolled: 1-line block ×22, first 2 shown]
	v_fma_f64 v[12:13], v[86:87], s[2:3], v[169:170]
	v_fma_f64 v[52:53], v[86:87], s[2:3], -v[169:170]
	v_fma_f64 v[169:170], v[86:87], s[0:1], v[171:172]
	v_fma_f64 v[171:172], v[86:87], s[0:1], -v[171:172]
	v_add_f64 v[34:35], v[34:35], -v[30:31]
	v_add_f64 v[24:25], v[24:25], v[20:21]
	v_fma_f64 v[251:252], v[86:87], s[10:11], v[82:83]
	v_fma_f64 v[82:83], v[86:87], s[10:11], -v[82:83]
	v_fma_f64 v[253:254], v[86:87], s[4:5], v[46:47]
	v_fma_f64 v[46:47], v[86:87], s[4:5], -v[46:47]
	;; [unrolled: 2-line block ×3, first 2 shown]
	v_add_f64 v[38:39], v[36:37], v[38:39]
	v_add_f64 v[86:87], v[32:33], -v[8:9]
	v_add_f64 v[32:33], v[32:33], v[8:9]
	v_add_f64 v[8:9], v[8:9], v[40:41]
	;; [unrolled: 1-line block ×6, first 2 shown]
	v_add_f64 v[36:37], v[36:37], -v[28:29]
	v_add_f64 v[54:55], v[54:55], v[98:99]
	v_add_f64 v[88:89], v[111:112], v[175:176]
	;; [unrolled: 1-line block ×20, first 2 shown]
	v_mul_f64 v[40:41], v[34:35], s[24:25]
	v_mul_f64 v[98:99], v[34:35], s[20:21]
	;; [unrolled: 1-line block ×4, first 2 shown]
	v_add_f64 v[28:29], v[28:29], v[38:39]
	v_mul_f64 v[38:39], v[34:35], s[36:37]
	v_mul_f64 v[34:35], v[34:35], s[30:31]
	v_add_f64 v[8:9], v[20:21], v[8:9]
	v_add_f64 v[20:21], v[239:240], v[193:194]
	;; [unrolled: 1-line block ×4, first 2 shown]
	v_mul_f64 v[103:104], v[68:69], s[0:1]
	v_mul_f64 v[187:188], v[68:69], s[12:13]
	v_add_f64 v[54:55], v[157:158], v[54:55]
	v_mul_f64 v[225:226], v[68:69], s[4:5]
	v_add_f64 v[74:75], v[121:122], v[90:91]
	v_add_f64 v[56:57], v[159:160], v[56:57]
	v_add_f64 v[76:77], v[76:77], v[175:176]
	v_add_f64 v[90:91], v[139:140], v[92:93]
	v_add_f64 v[92:93], v[141:142], v[94:95]
	v_mul_f64 v[177:178], v[36:37], s[38:39]
	v_add_f64 v[48:49], v[221:222], v[48:49]
	v_add_f64 v[113:114], v[247:248], v[181:182]
	;; [unrolled: 1-line block ×3, first 2 shown]
	v_mul_f64 v[145:146], v[36:37], s[36:37]
	v_mul_f64 v[151:152], v[68:69], s[6:7]
	v_add_f64 v[96:97], v[165:166], v[109:110]
	v_add_f64 v[2:3], v[58:59], v[2:3]
	;; [unrolled: 1-line block ×7, first 2 shown]
	v_fma_f64 v[64:65], v[24:25], s[10:11], v[40:41]
	v_fma_f64 v[40:41], v[24:25], s[10:11], -v[40:41]
	v_fma_f64 v[70:71], v[24:25], s[2:3], v[98:99]
	v_fma_f64 v[98:99], v[24:25], s[2:3], -v[98:99]
	;; [unrolled: 2-line block ×4, first 2 shown]
	v_mul_f64 v[147:148], v[68:69], s[10:11]
	v_add_f64 v[28:29], v[30:31], v[28:29]
	v_fma_f64 v[30:31], v[24:25], s[12:13], v[38:39]
	v_fma_f64 v[38:39], v[24:25], s[12:13], -v[38:39]
	v_fma_f64 v[227:228], v[24:25], s[4:5], v[34:35]
	v_fma_f64 v[24:25], v[24:25], s[4:5], -v[34:35]
	v_add_f64 v[34:35], v[60:61], v[72:73]
	v_add_f64 v[60:61], v[199:200], v[88:89]
	;; [unrolled: 1-line block ×9, first 2 shown]
	v_fma_f64 v[20:21], v[86:87], s[16:17], v[103:104]
	v_add_f64 v[76:77], v[135:136], v[92:93]
	v_fma_f64 v[58:59], v[86:87], s[38:39], v[103:104]
	v_fma_f64 v[103:104], v[86:87], s[14:15], v[187:188]
	;; [unrolled: 1-line block ×3, first 2 shown]
	v_add_f64 v[80:81], v[137:138], v[94:95]
	v_add_f64 v[72:73], v[241:242], v[111:112]
	;; [unrolled: 1-line block ×4, first 2 shown]
	v_mul_f64 v[68:69], v[68:69], s[2:3]
	v_mul_f64 v[149:150], v[36:37], s[34:35]
	;; [unrolled: 1-line block ×5, first 2 shown]
	v_add_f64 v[46:47], v[46:47], v[96:97]
	v_add_f64 v[82:83], v[82:83], v[107:108]
	v_add_f64 v[48:49], v[215:216], v[48:49]
	v_add_f64 v[94:95], v[253:254], v[113:114]
	v_add_f64 v[2:3], v[62:63], v[2:3]
	v_add_f64 v[0:1], v[84:85], v[0:1]
	v_add_f64 v[96:97], v[217:218], v[121:122]
	v_fma_f64 v[78:79], v[32:33], s[0:1], -v[177:178]
	v_fma_f64 v[139:140], v[32:33], s[12:13], v[145:146]
	v_fma_f64 v[141:142], v[86:87], s[36:37], v[187:188]
	v_add_f64 v[26:27], v[26:27], v[28:29]
	v_fma_f64 v[28:29], v[32:33], s[0:1], v[177:178]
	v_fma_f64 v[143:144], v[32:33], s[12:13], -v[145:146]
	v_fma_f64 v[145:146], v[86:87], s[28:29], v[151:152]
	v_fma_f64 v[151:152], v[86:87], s[34:35], v[151:152]
	v_add_f64 v[34:35], v[195:196], v[34:35]
	v_add_f64 v[54:55], v[201:202], v[60:61]
	;; [unrolled: 1-line block ×8, first 2 shown]
	v_fma_f64 v[157:158], v[86:87], s[26:27], v[225:226]
	v_fma_f64 v[62:63], v[86:87], s[18:19], v[147:148]
	v_add_f64 v[52:53], v[129:130], v[76:77]
	v_fma_f64 v[84:85], v[86:87], s[24:25], v[147:148]
	v_add_f64 v[12:13], v[12:13], v[72:73]
	v_add_f64 v[72:73], v[169:170], v[88:89]
	;; [unrolled: 1-line block ×4, first 2 shown]
	v_fma_f64 v[100:101], v[86:87], s[20:21], v[68:69]
	v_fma_f64 v[68:69], v[86:87], s[22:23], v[68:69]
	;; [unrolled: 1-line block ×3, first 2 shown]
	v_fma_f64 v[105:106], v[32:33], s[6:7], -v[149:150]
	v_fma_f64 v[107:108], v[32:33], s[4:5], v[155:156]
	v_fma_f64 v[109:110], v[32:33], s[4:5], -v[155:156]
	v_fma_f64 v[111:112], v[32:33], s[10:11], v[153:154]
	;; [unrolled: 2-line block ×3, first 2 shown]
	v_fma_f64 v[121:122], v[32:33], s[2:3], -v[36:37]
	v_add_f64 v[32:33], v[38:39], v[50:51]
	v_add_f64 v[46:47], v[119:120], v[46:47]
	;; [unrolled: 1-line block ×32, first 2 shown]
	v_mov_b32_e32 v103, 0
	v_add_f64 v[34:35], v[159:160], v[52:53]
	v_add_f64 v[52:53], v[10:11], v[4:5]
	scratch_load_b64 v[10:11], off, off     ; 8-byte Folded Reload
	v_add_f64 v[22:23], v[141:142], v[38:39]
	v_add_f64 v[38:39], v[84:85], v[54:55]
	;; [unrolled: 1-line block ×6, first 2 shown]
	v_lshlrev_b64 v[4:5], 4, v[102:103]
	v_add_f64 v[16:17], v[139:140], v[36:37]
	v_add_f64 v[36:37], v[113:114], v[46:47]
	;; [unrolled: 1-line block ×11, first 2 shown]
	s_waitcnt vmcnt(0)
	v_add_co_u32 v10, vcc_lo, s8, v10
	v_add_co_ci_u32_e32 v11, vcc_lo, s9, v11, vcc_lo
	s_delay_alu instid0(VALU_DEP_2) | instskip(NEXT) | instid1(VALU_DEP_2)
	v_add_co_u32 v4, vcc_lo, v10, v4
	v_add_co_ci_u32_e32 v5, vcc_lo, v11, v5, vcc_lo
	s_delay_alu instid0(VALU_DEP_2) | instskip(NEXT) | instid1(VALU_DEP_2)
	v_add_co_u32 v10, vcc_lo, 0x1000, v4
	v_add_co_ci_u32_e32 v11, vcc_lo, 0, v5, vcc_lo
	v_add_co_u32 v56, vcc_lo, 0x2000, v4
	v_add_co_ci_u32_e32 v57, vcc_lo, 0, v5, vcc_lo
	s_clause 0xc
	global_store_b128 v[4:5], v[36:39], off offset:1600
	global_store_b128 v[4:5], v[32:35], off offset:2400
	;; [unrolled: 1-line block ×11, first 2 shown]
	global_store_b128 v[4:5], v[52:55], off
	global_store_b128 v[56:57], v[6:9], off offset:1408
	s_endpgm
	.section	.rodata,"a",@progbits
	.p2align	6, 0x0
	.amdhsa_kernel fft_rtc_fwd_len650_factors_10_5_13_wgs_195_tpt_65_dp_ip_CI_unitstride_sbrr_dirReg
		.amdhsa_group_segment_fixed_size 0
		.amdhsa_private_segment_fixed_size 12
		.amdhsa_kernarg_size 88
		.amdhsa_user_sgpr_count 15
		.amdhsa_user_sgpr_dispatch_ptr 0
		.amdhsa_user_sgpr_queue_ptr 0
		.amdhsa_user_sgpr_kernarg_segment_ptr 1
		.amdhsa_user_sgpr_dispatch_id 0
		.amdhsa_user_sgpr_private_segment_size 0
		.amdhsa_wavefront_size32 1
		.amdhsa_uses_dynamic_stack 0
		.amdhsa_enable_private_segment 1
		.amdhsa_system_sgpr_workgroup_id_x 1
		.amdhsa_system_sgpr_workgroup_id_y 0
		.amdhsa_system_sgpr_workgroup_id_z 0
		.amdhsa_system_sgpr_workgroup_info 0
		.amdhsa_system_vgpr_workitem_id 0
		.amdhsa_next_free_vgpr 255
		.amdhsa_next_free_sgpr 40
		.amdhsa_reserve_vcc 1
		.amdhsa_float_round_mode_32 0
		.amdhsa_float_round_mode_16_64 0
		.amdhsa_float_denorm_mode_32 3
		.amdhsa_float_denorm_mode_16_64 3
		.amdhsa_dx10_clamp 1
		.amdhsa_ieee_mode 1
		.amdhsa_fp16_overflow 0
		.amdhsa_workgroup_processor_mode 1
		.amdhsa_memory_ordered 1
		.amdhsa_forward_progress 0
		.amdhsa_shared_vgpr_count 0
		.amdhsa_exception_fp_ieee_invalid_op 0
		.amdhsa_exception_fp_denorm_src 0
		.amdhsa_exception_fp_ieee_div_zero 0
		.amdhsa_exception_fp_ieee_overflow 0
		.amdhsa_exception_fp_ieee_underflow 0
		.amdhsa_exception_fp_ieee_inexact 0
		.amdhsa_exception_int_div_zero 0
	.end_amdhsa_kernel
	.text
.Lfunc_end0:
	.size	fft_rtc_fwd_len650_factors_10_5_13_wgs_195_tpt_65_dp_ip_CI_unitstride_sbrr_dirReg, .Lfunc_end0-fft_rtc_fwd_len650_factors_10_5_13_wgs_195_tpt_65_dp_ip_CI_unitstride_sbrr_dirReg
                                        ; -- End function
	.section	.AMDGPU.csdata,"",@progbits
; Kernel info:
; codeLenInByte = 9096
; NumSgprs: 42
; NumVgprs: 255
; ScratchSize: 12
; MemoryBound: 1
; FloatMode: 240
; IeeeMode: 1
; LDSByteSize: 0 bytes/workgroup (compile time only)
; SGPRBlocks: 5
; VGPRBlocks: 31
; NumSGPRsForWavesPerEU: 42
; NumVGPRsForWavesPerEU: 255
; Occupancy: 5
; WaveLimiterHint : 1
; COMPUTE_PGM_RSRC2:SCRATCH_EN: 1
; COMPUTE_PGM_RSRC2:USER_SGPR: 15
; COMPUTE_PGM_RSRC2:TRAP_HANDLER: 0
; COMPUTE_PGM_RSRC2:TGID_X_EN: 1
; COMPUTE_PGM_RSRC2:TGID_Y_EN: 0
; COMPUTE_PGM_RSRC2:TGID_Z_EN: 0
; COMPUTE_PGM_RSRC2:TIDIG_COMP_CNT: 0
	.text
	.p2alignl 7, 3214868480
	.fill 96, 4, 3214868480
	.type	__hip_cuid_68c06ae7bc8704bc,@object ; @__hip_cuid_68c06ae7bc8704bc
	.section	.bss,"aw",@nobits
	.globl	__hip_cuid_68c06ae7bc8704bc
__hip_cuid_68c06ae7bc8704bc:
	.byte	0                               ; 0x0
	.size	__hip_cuid_68c06ae7bc8704bc, 1

	.ident	"AMD clang version 19.0.0git (https://github.com/RadeonOpenCompute/llvm-project roc-6.4.0 25133 c7fe45cf4b819c5991fe208aaa96edf142730f1d)"
	.section	".note.GNU-stack","",@progbits
	.addrsig
	.addrsig_sym __hip_cuid_68c06ae7bc8704bc
	.amdgpu_metadata
---
amdhsa.kernels:
  - .args:
      - .actual_access:  read_only
        .address_space:  global
        .offset:         0
        .size:           8
        .value_kind:     global_buffer
      - .offset:         8
        .size:           8
        .value_kind:     by_value
      - .actual_access:  read_only
        .address_space:  global
        .offset:         16
        .size:           8
        .value_kind:     global_buffer
      - .actual_access:  read_only
        .address_space:  global
        .offset:         24
        .size:           8
        .value_kind:     global_buffer
      - .offset:         32
        .size:           8
        .value_kind:     by_value
      - .actual_access:  read_only
        .address_space:  global
        .offset:         40
        .size:           8
        .value_kind:     global_buffer
      - .actual_access:  read_only
        .address_space:  global
        .offset:         48
        .size:           8
        .value_kind:     global_buffer
      - .offset:         56
        .size:           4
        .value_kind:     by_value
      - .actual_access:  read_only
        .address_space:  global
        .offset:         64
        .size:           8
        .value_kind:     global_buffer
      - .actual_access:  read_only
        .address_space:  global
        .offset:         72
        .size:           8
        .value_kind:     global_buffer
      - .address_space:  global
        .offset:         80
        .size:           8
        .value_kind:     global_buffer
    .group_segment_fixed_size: 0
    .kernarg_segment_align: 8
    .kernarg_segment_size: 88
    .language:       OpenCL C
    .language_version:
      - 2
      - 0
    .max_flat_workgroup_size: 195
    .name:           fft_rtc_fwd_len650_factors_10_5_13_wgs_195_tpt_65_dp_ip_CI_unitstride_sbrr_dirReg
    .private_segment_fixed_size: 12
    .sgpr_count:     42
    .sgpr_spill_count: 0
    .symbol:         fft_rtc_fwd_len650_factors_10_5_13_wgs_195_tpt_65_dp_ip_CI_unitstride_sbrr_dirReg.kd
    .uniform_work_group_size: 1
    .uses_dynamic_stack: false
    .vgpr_count:     255
    .vgpr_spill_count: 2
    .wavefront_size: 32
    .workgroup_processor_mode: 1
amdhsa.target:   amdgcn-amd-amdhsa--gfx1100
amdhsa.version:
  - 1
  - 2
...

	.end_amdgpu_metadata
